;; amdgpu-corpus repo=ROCm/rocFFT kind=compiled arch=gfx906 opt=O3
	.text
	.amdgcn_target "amdgcn-amd-amdhsa--gfx906"
	.amdhsa_code_object_version 6
	.protected	fft_rtc_fwd_len512_factors_8_8_8_wgs_512_tpt_128_dp_op_CI_CI_sbrc_z_xy_diag ; -- Begin function fft_rtc_fwd_len512_factors_8_8_8_wgs_512_tpt_128_dp_op_CI_CI_sbrc_z_xy_diag
	.globl	fft_rtc_fwd_len512_factors_8_8_8_wgs_512_tpt_128_dp_op_CI_CI_sbrc_z_xy_diag
	.p2align	8
	.type	fft_rtc_fwd_len512_factors_8_8_8_wgs_512_tpt_128_dp_op_CI_CI_sbrc_z_xy_diag,@function
fft_rtc_fwd_len512_factors_8_8_8_wgs_512_tpt_128_dp_op_CI_CI_sbrc_z_xy_diag: ; @fft_rtc_fwd_len512_factors_8_8_8_wgs_512_tpt_128_dp_op_CI_CI_sbrc_z_xy_diag
; %bb.0:
	s_load_dwordx8 s[8:15], s[4:5], 0x0
	s_mov_b32 s7, 0
	v_and_b32_e32 v36, 0x7f, v0
	s_waitcnt lgkmcnt(0)
	s_load_dwordx4 s[0:3], s[12:13], 0x8
	s_waitcnt lgkmcnt(0)
	s_add_i32 s0, s0, -1
	s_lshr_b32 s0, s0, 2
	s_add_i32 s0, s0, 1
	s_mul_i32 s17, s0, s2
	v_cvt_f32_u32_e32 v1, s17
	s_load_dwordx4 s[0:3], s[14:15], 0x0
	s_waitcnt lgkmcnt(0)
	s_load_dword s3, s[14:15], 0x10
	v_rcp_iflag_f32_e32 v1, v1
	v_mul_f32_e32 v1, 0x4f7ffffe, v1
	v_cvt_u32_f32_e32 v3, v1
	v_mad_u64_u32 v[1:2], s[12:13], s0, v0, 0
	s_sub_i32 s0, 0, s17
	v_readfirstlane_b32 s12, v3
	s_mul_i32 s0, s0, s12
	s_mul_hi_u32 s0, s12, s0
	s_add_i32 s12, s12, s0
	s_mul_hi_u32 s0, s6, s12
	s_mul_i32 s12, s0, s17
	s_sub_i32 s12, s6, s12
	s_add_i32 s13, s0, 1
	s_sub_i32 s16, s12, s17
	s_cmp_ge_u32 s12, s17
	s_cselect_b32 s0, s13, s0
	s_cselect_b32 s12, s16, s12
	s_add_i32 s13, s0, 1
	s_cmp_ge_u32 s12, s17
	s_cselect_b32 s16, s13, s0
	s_mul_i32 s0, s16, s17
	s_sub_i32 s0, s6, s0
	s_and_b32 s6, s0, 0x7f
	s_lshr_b32 s0, s0, 7
	s_add_i32 s0, s0, s6
	s_lshl_b32 s18, s6, 2
	s_and_b32 s17, s0, 0x1ff
	s_mul_i32 s0, s18, s2
	s_waitcnt lgkmcnt(0)
	s_mul_i32 s3, s17, s3
	s_lshl_b64 s[10:11], s[10:11], 3
	s_add_i32 s6, s3, s0
	s_add_u32 s12, s14, s10
	s_addc_u32 s13, s15, s11
	s_load_dwordx2 s[14:15], s[12:13], 0x0
	s_load_dwordx2 s[20:21], s[4:5], 0x58
	;; [unrolled: 1-line block ×3, first 2 shown]
	v_mad_u64_u32 v[2:3], s[0:1], s1, v0, v[2:3]
	s_waitcnt lgkmcnt(0)
	s_mul_i32 s1, s15, s16
	s_mul_hi_u32 s3, s14, s16
	s_add_i32 s1, s3, s1
	s_mul_i32 s0, s14, s16
	s_add_u32 s12, s22, s10
	s_addc_u32 s13, s23, s11
	s_lshl_b64 s[0:1], s[0:1], 4
	s_add_u32 s3, s20, s0
	s_addc_u32 s10, s21, s1
	s_lshl_b64 s[0:1], s[6:7], 4
	s_add_u32 s0, s3, s0
	v_lshlrev_b64 v[1:2], 4, v[1:2]
	s_addc_u32 s1, s10, s1
	v_mov_b32_e32 v3, s1
	v_add_co_u32_e32 v9, vcc, s0, v1
	s_mov_b32 s3, s7
	v_addc_co_u32_e32 v10, vcc, v3, v2, vcc
	s_lshl_b64 s[0:1], s[2:3], 4
	v_mov_b32_e32 v1, s1
	v_add_co_u32_e32 v11, vcc, s0, v9
	s_add_i32 s6, s2, s2
	v_addc_co_u32_e32 v12, vcc, v10, v1, vcc
	s_lshl_b64 s[0:1], s[6:7], 4
	global_load_dwordx4 v[1:4], v[9:10], off
	global_load_dwordx4 v[5:8], v[11:12], off
	v_mov_b32_e32 v11, s1
	v_add_co_u32_e32 v17, vcc, s0, v9
	s_add_i32 s6, s6, s2
	v_addc_co_u32_e32 v18, vcc, v10, v11, vcc
	s_lshl_b64 s[0:1], s[6:7], 4
	v_mov_b32_e32 v11, s1
	v_add_co_u32_e32 v19, vcc, s0, v9
	v_addc_co_u32_e32 v20, vcc, v10, v11, vcc
	global_load_dwordx4 v[9:12], v[17:18], off
	global_load_dwordx4 v[13:16], v[19:20], off
	v_lshlrev_b32_e32 v17, 2, v0
	v_and_b32_e32 v17, 0x600, v17
	v_lshlrev_b32_e32 v19, 4, v36
	v_lshlrev_b32_e32 v35, 4, v17
	v_add_u32_e32 v37, 0, v19
	v_lshl_add_u32 v18, v0, 4, 0
	v_add_u32_e32 v33, v37, v35
	v_add3_u32 v34, 0, v35, v19
	s_load_dwordx4 s[0:3], s[22:23], 0x0
	s_load_dwordx2 s[6:7], s[22:23], 0x10
	s_load_dwordx2 s[10:11], s[12:13], 0x0
	s_mov_b32 s12, 0x667f3bcd
	s_mov_b32 s13, 0xbfe6a09e
	;; [unrolled: 1-line block ×4, first 2 shown]
	v_cmp_gt_u32_e32 vcc, 64, v36
	s_waitcnt vmcnt(3)
	ds_write_b128 v18, v[1:4]
	s_waitcnt vmcnt(2)
	ds_write_b128 v18, v[5:8] offset:8192
	s_waitcnt vmcnt(1)
	ds_write_b128 v18, v[9:12] offset:16384
	;; [unrolled: 2-line block ×3, first 2 shown]
	s_waitcnt lgkmcnt(0)
	s_barrier
	ds_read_b128 v[1:4], v33 offset:6144
	ds_read_b128 v[5:8], v34
	ds_read_b128 v[9:12], v33 offset:1024
	ds_read_b128 v[13:16], v33 offset:4096
	;; [unrolled: 1-line block ×6, first 2 shown]
	s_waitcnt lgkmcnt(4)
	v_add_f64 v[13:14], v[5:6], -v[13:14]
	v_add_f64 v[15:16], v[7:8], -v[15:16]
	s_waitcnt lgkmcnt(2)
	v_add_f64 v[1:2], v[21:22], -v[1:2]
	v_add_f64 v[3:4], v[23:24], -v[3:4]
	;; [unrolled: 1-line block ×4, first 2 shown]
	s_waitcnt lgkmcnt(0)
	v_add_f64 v[31:32], v[27:28], -v[31:32]
	v_add_f64 v[29:30], v[25:26], -v[29:30]
	v_fma_f64 v[5:6], v[5:6], 2.0, -v[13:14]
	v_fma_f64 v[7:8], v[7:8], 2.0, -v[15:16]
	;; [unrolled: 1-line block ×4, first 2 shown]
	v_add_f64 v[3:4], v[13:14], -v[3:4]
	v_add_f64 v[42:43], v[15:16], v[1:2]
	v_add_f64 v[38:39], v[17:18], -v[31:32]
	v_add_f64 v[40:41], v[19:20], v[29:30]
	v_fma_f64 v[1:2], v[9:10], 2.0, -v[17:18]
	v_fma_f64 v[9:10], v[11:12], 2.0, -v[19:20]
	;; [unrolled: 1-line block ×8, first 2 shown]
	v_add_f64 v[29:30], v[7:8], -v[23:24]
	v_fma_f64 v[23:24], v[38:39], s[14:15], v[3:4]
	v_add_f64 v[15:16], v[1:2], -v[11:12]
	v_add_f64 v[13:14], v[9:10], -v[25:26]
	;; [unrolled: 1-line block ×3, first 2 shown]
	v_fma_f64 v[11:12], v[17:18], s[12:13], v[27:28]
	v_fma_f64 v[21:22], v[19:20], s[12:13], v[31:32]
	v_fma_f64 v[48:49], v[7:8], 2.0, -v[29:30]
	v_fma_f64 v[7:8], v[40:41], s[14:15], v[42:43]
	v_fma_f64 v[1:2], v[1:2], 2.0, -v[15:16]
	v_fma_f64 v[44:45], v[9:10], 2.0, -v[13:14]
	;; [unrolled: 1-line block ×3, first 2 shown]
	v_add_f64 v[13:14], v[25:26], -v[13:14]
	v_fma_f64 v[9:10], v[19:20], s[12:13], v[11:12]
	v_fma_f64 v[11:12], v[17:18], s[14:15], v[21:22]
	v_add_f64 v[15:16], v[29:30], v[15:16]
	v_fma_f64 v[5:6], v[40:41], s[12:13], v[23:24]
	v_fma_f64 v[7:8], v[38:39], s[14:15], v[7:8]
	v_add_f64 v[23:24], v[48:49], -v[44:45]
	v_add_f64 v[21:22], v[46:47], -v[1:2]
	v_fma_f64 v[17:18], v[25:26], 2.0, -v[13:14]
	v_fma_f64 v[25:26], v[27:28], 2.0, -v[9:10]
	;; [unrolled: 1-line block ×8, first 2 shown]
	s_barrier
	s_and_saveexec_b64 s[12:13], vcc
	s_cbranch_execz .LBB0_2
; %bb.1:
	v_mul_u32_u24_e32 v36, 0x70, v36
	v_add3_u32 v36, v37, v36, v35
	ds_write_b128 v36, v[1:4]
	ds_write_b128 v36, v[25:28] offset:16
	ds_write_b128 v36, v[17:20] offset:32
	;; [unrolled: 1-line block ×7, first 2 shown]
.LBB0_2:
	s_or_b64 exec, exec, s[12:13]
	s_waitcnt lgkmcnt(0)
	s_barrier
	s_and_saveexec_b64 s[12:13], vcc
	s_cbranch_execz .LBB0_4
; %bb.3:
	ds_read_b128 v[1:4], v34
	ds_read_b128 v[25:28], v33 offset:1024
	ds_read_b128 v[17:20], v33 offset:2048
	;; [unrolled: 1-line block ×7, first 2 shown]
.LBB0_4:
	s_or_b64 exec, exec, s[12:13]
	v_and_b32_e32 v36, 7, v0
	v_mul_u32_u24_e32 v37, 7, v36
	v_lshlrev_b32_e32 v47, 4, v37
	global_load_dwordx4 v[37:40], v47, s[8:9]
	global_load_dwordx4 v[41:44], v47, s[8:9] offset:16
	s_mov_b32 s12, 0x667f3bcd
	s_mov_b32 s13, 0xbfe6a09e
	;; [unrolled: 1-line block ×3, first 2 shown]
	s_waitcnt vmcnt(1) lgkmcnt(6)
	v_mul_f64 v[45:46], v[27:28], v[39:40]
	v_fma_f64 v[45:46], v[25:26], v[37:38], -v[45:46]
	v_mul_f64 v[25:26], v[25:26], v[39:40]
	v_fma_f64 v[37:38], v[27:28], v[37:38], v[25:26]
	s_waitcnt vmcnt(0) lgkmcnt(5)
	v_mul_f64 v[25:26], v[19:20], v[43:44]
	v_mul_f64 v[27:28], v[17:18], v[43:44]
	v_fma_f64 v[39:40], v[17:18], v[41:42], -v[25:26]
	v_fma_f64 v[41:42], v[19:20], v[41:42], v[27:28]
	global_load_dwordx4 v[17:20], v47, s[8:9] offset:32
	global_load_dwordx4 v[25:28], v47, s[8:9] offset:48
	s_waitcnt vmcnt(1) lgkmcnt(4)
	v_mul_f64 v[43:44], v[31:32], v[19:20]
	v_mul_f64 v[19:20], v[29:30], v[19:20]
	v_fma_f64 v[43:44], v[29:30], v[17:18], -v[43:44]
	v_fma_f64 v[29:30], v[31:32], v[17:18], v[19:20]
	s_waitcnt vmcnt(0) lgkmcnt(3)
	v_mul_f64 v[17:18], v[23:24], v[27:28]
	v_mul_f64 v[19:20], v[21:22], v[27:28]
	v_fma_f64 v[27:28], v[21:22], v[25:26], -v[17:18]
	v_fma_f64 v[25:26], v[23:24], v[25:26], v[19:20]
	global_load_dwordx4 v[17:20], v47, s[8:9] offset:64
	global_load_dwordx4 v[21:24], v47, s[8:9] offset:80
	s_waitcnt vmcnt(1) lgkmcnt(2)
	v_mul_f64 v[31:32], v[11:12], v[19:20]
	v_fma_f64 v[31:32], v[9:10], v[17:18], -v[31:32]
	v_mul_f64 v[9:10], v[9:10], v[19:20]
	v_fma_f64 v[17:18], v[11:12], v[17:18], v[9:10]
	s_waitcnt vmcnt(0) lgkmcnt(1)
	v_mul_f64 v[9:10], v[15:16], v[23:24]
	v_mul_f64 v[11:12], v[13:14], v[23:24]
	v_add_f64 v[17:18], v[37:38], -v[17:18]
	v_fma_f64 v[13:14], v[13:14], v[21:22], -v[9:10]
	v_fma_f64 v[15:16], v[15:16], v[21:22], v[11:12]
	global_load_dwordx4 v[9:12], v47, s[8:9] offset:96
	s_waitcnt vmcnt(0) lgkmcnt(0)
	s_barrier
	v_add_f64 v[13:14], v[39:40], -v[13:14]
	v_add_f64 v[15:16], v[41:42], -v[15:16]
	v_fma_f64 v[21:22], v[39:40], 2.0, -v[13:14]
	v_fma_f64 v[23:24], v[41:42], 2.0, -v[15:16]
	v_mul_f64 v[19:20], v[7:8], v[11:12]
	v_mul_f64 v[11:12], v[5:6], v[11:12]
	v_fma_f64 v[5:6], v[5:6], v[9:10], -v[19:20]
	v_fma_f64 v[7:8], v[7:8], v[9:10], v[11:12]
	v_add_f64 v[9:10], v[1:2], -v[27:28]
	v_add_f64 v[11:12], v[3:4], -v[25:26]
	;; [unrolled: 1-line block ×3, first 2 shown]
	v_fma_f64 v[27:28], v[37:38], 2.0, -v[17:18]
	v_add_f64 v[5:6], v[43:44], -v[5:6]
	v_add_f64 v[7:8], v[29:30], -v[7:8]
	v_fma_f64 v[1:2], v[1:2], 2.0, -v[9:10]
	v_fma_f64 v[3:4], v[3:4], 2.0, -v[11:12]
	;; [unrolled: 1-line block ×3, first 2 shown]
	v_add_f64 v[15:16], v[9:10], -v[15:16]
	v_add_f64 v[37:38], v[11:12], v[13:14]
	v_fma_f64 v[13:14], v[43:44], 2.0, -v[5:6]
	v_fma_f64 v[29:30], v[29:30], 2.0, -v[7:8]
	v_add_f64 v[39:40], v[19:20], -v[7:8]
	v_add_f64 v[5:6], v[17:18], v[5:6]
	v_add_f64 v[21:22], v[1:2], -v[21:22]
	v_add_f64 v[23:24], v[3:4], -v[23:24]
	v_fma_f64 v[41:42], v[9:10], 2.0, -v[15:16]
	v_fma_f64 v[43:44], v[11:12], 2.0, -v[37:38]
	v_add_f64 v[7:8], v[25:26], -v[13:14]
	v_add_f64 v[9:10], v[27:28], -v[29:30]
	v_fma_f64 v[11:12], v[19:20], 2.0, -v[39:40]
	v_fma_f64 v[13:14], v[17:18], 2.0, -v[5:6]
	v_fma_f64 v[29:30], v[39:40], s[14:15], v[15:16]
	v_fma_f64 v[1:2], v[1:2], 2.0, -v[21:22]
	v_fma_f64 v[3:4], v[3:4], 2.0, -v[23:24]
	v_fma_f64 v[49:50], v[5:6], s[14:15], v[37:38]
	;; [unrolled: 3-line block ×3, first 2 shown]
	v_fma_f64 v[47:48], v[13:14], s[12:13], v[43:44]
	v_add_f64 v[17:18], v[21:22], -v[9:10]
	v_add_f64 v[19:20], v[23:24], v[7:8]
	v_fma_f64 v[25:26], v[5:6], s[12:13], v[29:30]
	v_add_f64 v[5:6], v[1:2], -v[31:32]
	v_add_f64 v[7:8], v[3:4], -v[27:28]
	v_fma_f64 v[29:30], v[13:14], s[12:13], v[45:46]
	v_fma_f64 v[31:32], v[11:12], s[14:15], v[47:48]
	;; [unrolled: 1-line block ×3, first 2 shown]
	v_fma_f64 v[9:10], v[21:22], 2.0, -v[17:18]
	v_fma_f64 v[11:12], v[23:24], 2.0, -v[19:20]
	;; [unrolled: 1-line block ×8, first 2 shown]
	s_and_saveexec_b64 s[12:13], vcc
	s_cbranch_execz .LBB0_6
; %bb.5:
	v_lshlrev_b32_e32 v37, 3, v0
	s_movk_i32 s3, 0x1c0
	v_and_or_b32 v36, v37, s3, v36
	v_lshlrev_b32_e32 v36, 4, v36
	v_add3_u32 v35, 0, v36, v35
	ds_write_b128 v35, v[1:4]
	ds_write_b128 v35, v[13:16] offset:128
	ds_write_b128 v35, v[9:12] offset:256
	;; [unrolled: 1-line block ×7, first 2 shown]
.LBB0_6:
	s_or_b64 exec, exec, s[12:13]
	s_load_dwordx2 s[4:5], s[4:5], 0x60
	s_waitcnt lgkmcnt(0)
	s_barrier
	s_and_saveexec_b64 s[12:13], vcc
	s_cbranch_execz .LBB0_8
; %bb.7:
	ds_read_b128 v[1:4], v34
	ds_read_b128 v[13:16], v33 offset:1024
	ds_read_b128 v[9:12], v33 offset:2048
	;; [unrolled: 1-line block ×7, first 2 shown]
.LBB0_8:
	s_or_b64 exec, exec, s[12:13]
	s_waitcnt lgkmcnt(0)
	s_barrier
	s_and_saveexec_b64 s[12:13], vcc
	s_cbranch_execz .LBB0_10
; %bb.9:
	v_and_b32_e32 v35, 63, v0
	v_mul_u32_u24_e32 v35, 7, v35
	v_lshlrev_b32_e32 v57, 4, v35
	global_load_dwordx4 v[35:38], v57, s[8:9] offset:896
	global_load_dwordx4 v[39:42], v57, s[8:9] offset:960
	;; [unrolled: 1-line block ×5, first 2 shown]
	s_mov_b32 s15, 0xbfe6a09e
	s_waitcnt vmcnt(4)
	v_mul_f64 v[55:56], v[15:16], v[37:38]
	v_mul_f64 v[37:38], v[13:14], v[37:38]
	v_fma_f64 v[55:56], v[13:14], v[35:36], -v[55:56]
	v_fma_f64 v[35:36], v[15:16], v[35:36], v[37:38]
	global_load_dwordx4 v[13:16], v57, s[8:9] offset:944
	s_waitcnt vmcnt(4)
	v_mul_f64 v[37:38], v[31:32], v[41:42]
	v_mul_f64 v[41:42], v[29:30], v[41:42]
	v_fma_f64 v[37:38], v[29:30], v[39:40], -v[37:38]
	v_fma_f64 v[39:40], v[31:32], v[39:40], v[41:42]
	global_load_dwordx4 v[29:32], v57, s[8:9] offset:992
	s_waitcnt vmcnt(4)
	v_mul_f64 v[41:42], v[21:22], v[45:46]
	v_mul_f64 v[45:46], v[23:24], v[45:46]
	s_mov_b32 s8, 0x667f3bcd
	s_mov_b32 s9, 0x3fe6a09e
	s_mov_b32 s14, s8
	v_fma_f64 v[23:24], v[23:24], v[43:44], v[41:42]
	v_fma_f64 v[21:22], v[21:22], v[43:44], -v[45:46]
	s_waitcnt vmcnt(3)
	v_mul_f64 v[41:42], v[11:12], v[49:50]
	v_mul_f64 v[43:44], v[9:10], v[49:50]
	s_waitcnt vmcnt(2)
	v_mul_f64 v[49:50], v[17:18], v[53:54]
	v_fma_f64 v[9:10], v[9:10], v[47:48], -v[41:42]
	v_fma_f64 v[11:12], v[11:12], v[47:48], v[43:44]
	v_mul_f64 v[43:44], v[19:20], v[53:54]
	v_fma_f64 v[19:20], v[19:20], v[51:52], v[49:50]
	v_fma_f64 v[17:18], v[17:18], v[51:52], -v[43:44]
	v_add_f64 v[17:18], v[9:10], -v[17:18]
	v_fma_f64 v[9:10], v[9:10], 2.0, -v[17:18]
	s_waitcnt vmcnt(1)
	v_mul_f64 v[45:46], v[5:6], v[15:16]
	v_mul_f64 v[15:16], v[7:8], v[15:16]
	v_fma_f64 v[7:8], v[7:8], v[13:14], v[45:46]
	v_fma_f64 v[5:6], v[5:6], v[13:14], -v[15:16]
	v_add_f64 v[13:14], v[11:12], -v[19:20]
	s_waitcnt vmcnt(0)
	v_mul_f64 v[41:42], v[27:28], v[31:32]
	v_mul_f64 v[31:32], v[25:26], v[31:32]
	v_add_f64 v[15:16], v[55:56], -v[37:38]
	v_add_f64 v[7:8], v[3:4], -v[7:8]
	;; [unrolled: 1-line block ×3, first 2 shown]
	v_fma_f64 v[11:12], v[11:12], 2.0, -v[13:14]
	v_fma_f64 v[25:26], v[25:26], v[29:30], -v[41:42]
	v_fma_f64 v[27:28], v[27:28], v[29:30], v[31:32]
	v_fma_f64 v[29:30], v[55:56], 2.0, -v[15:16]
	v_fma_f64 v[3:4], v[3:4], 2.0, -v[7:8]
	v_fma_f64 v[1:2], v[1:2], 2.0, -v[5:6]
	v_add_f64 v[19:20], v[21:22], -v[25:26]
	v_add_f64 v[25:26], v[35:36], -v[39:40]
	;; [unrolled: 1-line block ×4, first 2 shown]
	v_fma_f64 v[21:22], v[21:22], 2.0, -v[19:20]
	v_fma_f64 v[31:32], v[35:36], 2.0, -v[25:26]
	;; [unrolled: 1-line block ×3, first 2 shown]
	v_add_f64 v[35:36], v[7:8], v[17:18]
	v_add_f64 v[19:20], v[25:26], v[19:20]
	v_add_f64 v[17:18], v[15:16], -v[27:28]
	v_add_f64 v[27:28], v[5:6], -v[13:14]
	v_fma_f64 v[41:42], v[3:4], 2.0, -v[37:38]
	v_add_f64 v[11:12], v[31:32], -v[23:24]
	v_fma_f64 v[39:40], v[7:8], 2.0, -v[35:36]
	v_add_f64 v[7:8], v[29:30], -v[21:22]
	v_add_f64 v[21:22], v[1:2], -v[9:10]
	v_fma_f64 v[23:24], v[25:26], 2.0, -v[19:20]
	v_fma_f64 v[9:10], v[15:16], 2.0, -v[17:18]
	;; [unrolled: 1-line block ×3, first 2 shown]
	v_fma_f64 v[5:6], v[19:20], s[8:9], v[35:36]
	v_fma_f64 v[13:14], v[17:18], s[8:9], v[27:28]
	v_fma_f64 v[15:16], v[31:32], 2.0, -v[11:12]
	v_fma_f64 v[29:30], v[29:30], 2.0, -v[7:8]
	;; [unrolled: 1-line block ×3, first 2 shown]
	v_fma_f64 v[31:32], v[23:24], s[14:15], v[39:40]
	v_add_f64 v[7:8], v[37:38], v[7:8]
	v_fma_f64 v[45:46], v[9:10], s[14:15], v[25:26]
	v_fma_f64 v[3:4], v[17:18], s[8:9], v[5:6]
	v_add_f64 v[5:6], v[21:22], -v[11:12]
	v_fma_f64 v[1:2], v[19:20], s[14:15], v[13:14]
	v_add_f64 v[15:16], v[41:42], -v[15:16]
	v_add_f64 v[13:14], v[43:44], -v[29:30]
	v_fma_f64 v[11:12], v[9:10], s[8:9], v[31:32]
	v_fma_f64 v[9:10], v[23:24], s[14:15], v[45:46]
	v_fma_f64 v[23:24], v[37:38], 2.0, -v[7:8]
	v_fma_f64 v[21:22], v[21:22], 2.0, -v[5:6]
	;; [unrolled: 1-line block ×8, first 2 shown]
	ds_write_b128 v33, v[5:8] offset:6144
	ds_write_b128 v33, v[21:24] offset:2048
	;; [unrolled: 1-line block ×5, first 2 shown]
	ds_write_b128 v34, v[29:32]
	ds_write_b128 v33, v[25:28] offset:1024
	ds_write_b128 v33, v[1:4] offset:7168
.LBB0_10:
	s_or_b64 exec, exec, s[12:13]
	v_and_b32_e32 v3, 3, v0
	v_mad_u64_u32 v[4:5], s[12:13], s0, v3, 0
	s_mul_i32 s3, s1, s18
	s_mul_hi_u32 s7, s0, s18
	s_add_i32 s9, s7, s3
	s_mul_i32 s7, s11, s16
	s_mul_hi_u32 s11, s10, s16
	v_mov_b32_e32 v1, v5
	s_mul_i32 s8, s0, s18
	s_add_i32 s11, s11, s7
	s_mul_i32 s10, s10, s16
	v_mad_u64_u32 v[1:2], s[0:1], s1, v3, v[1:2]
	s_lshl_b64 s[0:1], s[10:11], 4
	s_add_u32 s4, s4, s0
	s_addc_u32 s5, s5, s1
	s_lshl_b64 s[0:1], s[8:9], 4
	s_mul_i32 s2, s17, s2
	s_mov_b32 s3, 0
	v_lshrrev_b32_e32 v0, 2, v0
	s_add_u32 s4, s4, s0
	v_mov_b32_e32 v5, v1
	v_mul_lo_u32 v8, v0, s6
	v_lshlrev_b32_e32 v12, 13, v3
	v_lshlrev_b32_e32 v13, 4, v0
	s_addc_u32 s5, s5, s1
	s_lshl_b64 s[0:1], s[2:3], 4
	v_or_b32_e32 v0, v12, v13
	s_add_u32 s0, s4, s0
	v_lshlrev_b64 v[4:5], 4, v[4:5]
	v_add_u32_e32 v14, 0, v0
	s_addc_u32 s1, s5, s1
	s_waitcnt lgkmcnt(0)
	s_barrier
	v_mov_b32_e32 v9, 0
	ds_read_b128 v[0:3], v14
	v_mov_b32_e32 v6, s1
	v_add_co_u32_e32 v15, vcc, s0, v4
	v_addc_co_u32_e32 v16, vcc, v6, v5, vcc
	v_lshlrev_b64 v[4:5], 4, v[8:9]
	s_lshl_b32 s0, s6, 7
	v_add_co_u32_e32 v10, vcc, v15, v4
	v_addc_co_u32_e32 v11, vcc, v16, v5, vcc
	ds_read_b128 v[4:7], v14 offset:2048
	v_add_u32_e32 v8, s0, v8
	s_waitcnt lgkmcnt(1)
	global_store_dwordx4 v[10:11], v[0:3], off
	s_nop 0
	v_lshlrev_b64 v[0:1], 4, v[8:9]
	v_add_u32_e32 v8, s0, v8
	v_add_co_u32_e32 v0, vcc, v15, v0
	v_addc_co_u32_e32 v1, vcc, v16, v1, vcc
	s_waitcnt lgkmcnt(0)
	global_store_dwordx4 v[0:1], v[4:7], off
	ds_read_b128 v[0:3], v14 offset:4096
	v_lshlrev_b64 v[4:5], 4, v[8:9]
	v_add_u32_e32 v8, s0, v8
	v_add_co_u32_e32 v10, vcc, v15, v4
	v_add3_u32 v4, 0, v12, v13
	v_addc_co_u32_e32 v11, vcc, v16, v5, vcc
	ds_read_b128 v[4:7], v4 offset:6144
	s_waitcnt lgkmcnt(1)
	global_store_dwordx4 v[10:11], v[0:3], off
	s_nop 0
	v_lshlrev_b64 v[0:1], 4, v[8:9]
	v_add_co_u32_e32 v0, vcc, v15, v0
	v_addc_co_u32_e32 v1, vcc, v16, v1, vcc
	s_waitcnt lgkmcnt(0)
	global_store_dwordx4 v[0:1], v[4:7], off
	s_endpgm
	.section	.rodata,"a",@progbits
	.p2align	6, 0x0
	.amdhsa_kernel fft_rtc_fwd_len512_factors_8_8_8_wgs_512_tpt_128_dp_op_CI_CI_sbrc_z_xy_diag
		.amdhsa_group_segment_fixed_size 0
		.amdhsa_private_segment_fixed_size 0
		.amdhsa_kernarg_size 104
		.amdhsa_user_sgpr_count 6
		.amdhsa_user_sgpr_private_segment_buffer 1
		.amdhsa_user_sgpr_dispatch_ptr 0
		.amdhsa_user_sgpr_queue_ptr 0
		.amdhsa_user_sgpr_kernarg_segment_ptr 1
		.amdhsa_user_sgpr_dispatch_id 0
		.amdhsa_user_sgpr_flat_scratch_init 0
		.amdhsa_user_sgpr_private_segment_size 0
		.amdhsa_uses_dynamic_stack 0
		.amdhsa_system_sgpr_private_segment_wavefront_offset 0
		.amdhsa_system_sgpr_workgroup_id_x 1
		.amdhsa_system_sgpr_workgroup_id_y 0
		.amdhsa_system_sgpr_workgroup_id_z 0
		.amdhsa_system_sgpr_workgroup_info 0
		.amdhsa_system_vgpr_workitem_id 0
		.amdhsa_next_free_vgpr 58
		.amdhsa_next_free_sgpr 24
		.amdhsa_reserve_vcc 1
		.amdhsa_reserve_flat_scratch 0
		.amdhsa_float_round_mode_32 0
		.amdhsa_float_round_mode_16_64 0
		.amdhsa_float_denorm_mode_32 3
		.amdhsa_float_denorm_mode_16_64 3
		.amdhsa_dx10_clamp 1
		.amdhsa_ieee_mode 1
		.amdhsa_fp16_overflow 0
		.amdhsa_exception_fp_ieee_invalid_op 0
		.amdhsa_exception_fp_denorm_src 0
		.amdhsa_exception_fp_ieee_div_zero 0
		.amdhsa_exception_fp_ieee_overflow 0
		.amdhsa_exception_fp_ieee_underflow 0
		.amdhsa_exception_fp_ieee_inexact 0
		.amdhsa_exception_int_div_zero 0
	.end_amdhsa_kernel
	.text
.Lfunc_end0:
	.size	fft_rtc_fwd_len512_factors_8_8_8_wgs_512_tpt_128_dp_op_CI_CI_sbrc_z_xy_diag, .Lfunc_end0-fft_rtc_fwd_len512_factors_8_8_8_wgs_512_tpt_128_dp_op_CI_CI_sbrc_z_xy_diag
                                        ; -- End function
	.section	.AMDGPU.csdata,"",@progbits
; Kernel info:
; codeLenInByte = 3400
; NumSgprs: 28
; NumVgprs: 58
; ScratchSize: 0
; MemoryBound: 0
; FloatMode: 240
; IeeeMode: 1
; LDSByteSize: 0 bytes/workgroup (compile time only)
; SGPRBlocks: 3
; VGPRBlocks: 14
; NumSGPRsForWavesPerEU: 28
; NumVGPRsForWavesPerEU: 58
; Occupancy: 4
; WaveLimiterHint : 1
; COMPUTE_PGM_RSRC2:SCRATCH_EN: 0
; COMPUTE_PGM_RSRC2:USER_SGPR: 6
; COMPUTE_PGM_RSRC2:TRAP_HANDLER: 0
; COMPUTE_PGM_RSRC2:TGID_X_EN: 1
; COMPUTE_PGM_RSRC2:TGID_Y_EN: 0
; COMPUTE_PGM_RSRC2:TGID_Z_EN: 0
; COMPUTE_PGM_RSRC2:TIDIG_COMP_CNT: 0
	.type	__hip_cuid_725a88b28a6b6616,@object ; @__hip_cuid_725a88b28a6b6616
	.section	.bss,"aw",@nobits
	.globl	__hip_cuid_725a88b28a6b6616
__hip_cuid_725a88b28a6b6616:
	.byte	0                               ; 0x0
	.size	__hip_cuid_725a88b28a6b6616, 1

	.ident	"AMD clang version 19.0.0git (https://github.com/RadeonOpenCompute/llvm-project roc-6.4.0 25133 c7fe45cf4b819c5991fe208aaa96edf142730f1d)"
	.section	".note.GNU-stack","",@progbits
	.addrsig
	.addrsig_sym __hip_cuid_725a88b28a6b6616
	.amdgpu_metadata
---
amdhsa.kernels:
  - .args:
      - .actual_access:  read_only
        .address_space:  global
        .offset:         0
        .size:           8
        .value_kind:     global_buffer
      - .offset:         8
        .size:           8
        .value_kind:     by_value
      - .actual_access:  read_only
        .address_space:  global
        .offset:         16
        .size:           8
        .value_kind:     global_buffer
      - .actual_access:  read_only
        .address_space:  global
        .offset:         24
        .size:           8
        .value_kind:     global_buffer
      - .actual_access:  read_only
        .address_space:  global
        .offset:         32
        .size:           8
        .value_kind:     global_buffer
      - .offset:         40
        .size:           8
        .value_kind:     by_value
      - .actual_access:  read_only
        .address_space:  global
        .offset:         48
        .size:           8
        .value_kind:     global_buffer
      - .actual_access:  read_only
        .address_space:  global
        .offset:         56
        .size:           8
        .value_kind:     global_buffer
      - .offset:         64
        .size:           4
        .value_kind:     by_value
      - .actual_access:  read_only
        .address_space:  global
        .offset:         72
        .size:           8
        .value_kind:     global_buffer
      - .actual_access:  read_only
        .address_space:  global
        .offset:         80
        .size:           8
        .value_kind:     global_buffer
      - .actual_access:  read_only
        .address_space:  global
        .offset:         88
        .size:           8
        .value_kind:     global_buffer
      - .actual_access:  write_only
        .address_space:  global
        .offset:         96
        .size:           8
        .value_kind:     global_buffer
    .group_segment_fixed_size: 0
    .kernarg_segment_align: 8
    .kernarg_segment_size: 104
    .language:       OpenCL C
    .language_version:
      - 2
      - 0
    .max_flat_workgroup_size: 512
    .name:           fft_rtc_fwd_len512_factors_8_8_8_wgs_512_tpt_128_dp_op_CI_CI_sbrc_z_xy_diag
    .private_segment_fixed_size: 0
    .sgpr_count:     28
    .sgpr_spill_count: 0
    .symbol:         fft_rtc_fwd_len512_factors_8_8_8_wgs_512_tpt_128_dp_op_CI_CI_sbrc_z_xy_diag.kd
    .uniform_work_group_size: 1
    .uses_dynamic_stack: false
    .vgpr_count:     58
    .vgpr_spill_count: 0
    .wavefront_size: 64
amdhsa.target:   amdgcn-amd-amdhsa--gfx906
amdhsa.version:
  - 1
  - 2
...

	.end_amdgpu_metadata
